;; amdgpu-corpus repo=ROCm/rocm-examples kind=compiled arch=gfx906 opt=O3
	.amdgcn_target "amdgcn-amd-amdhsa--gfx906"
	.amdhsa_code_object_version 6
	.text
	.protected	_Z18histogram256_blockPhPji ; -- Begin function _Z18histogram256_blockPhPji
	.globl	_Z18histogram256_blockPhPji
	.p2align	8
	.type	_Z18histogram256_blockPhPji,@function
_Z18histogram256_blockPhPji:            ; @_Z18histogram256_blockPhPji
; %bb.0:
	s_load_dword s8, s[4:5], 0x24
	s_load_dwordx4 s[0:3], s[4:5], 0x0
	s_load_dword s7, s[4:5], 0x10
	s_waitcnt lgkmcnt(0)
	s_and_b32 s4, s8, 0xffff
	s_ff1_i32_b32 s5, s4
	s_add_i32 s5, s5, -2
	s_cmp_lg_u32 s4, 0
	s_cselect_b32 s5, s5, -3
	s_mov_b32 s8, 0
	v_bfe_u32 v1, v0, 0, s5
	v_lshrrev_b32_e32 v2, s5, v0
	v_lshl_or_b32 v1, v1, 2, v2
	s_mov_b32 s9, s8
	s_mov_b32 s10, s8
	;; [unrolled: 1-line block ×3, first 2 shown]
	v_mov_b32_e32 v2, s8
	v_lshl_add_u32 v6, v1, 8, 0
	v_mov_b32_e32 v3, s9
	v_mov_b32_e32 v4, s10
	;; [unrolled: 1-line block ×3, first 2 shown]
	s_cmp_lt_i32 s7, 1
	ds_write_b128 v6, v[2:5]
	ds_write_b128 v6, v[2:5] offset:16
	ds_write_b128 v6, v[2:5] offset:32
	;; [unrolled: 1-line block ×15, first 2 shown]
	s_waitcnt lgkmcnt(0)
	s_barrier
	s_cbranch_scc1 .LBB0_3
; %bb.1:
	s_mul_i32 s5, s6, s4
	v_add_u32_e32 v0, s5, v0
	v_mul_lo_u32 v2, v0, s7
	v_mov_b32_e32 v3, s1
	v_add_u32_e32 v0, 0, v1
	v_ashrrev_i32_e32 v4, 31, v2
	v_add_co_u32_e32 v2, vcc, s0, v2
	v_addc_co_u32_e32 v3, vcc, v3, v4, vcc
.LBB0_2:                                ; =>This Inner Loop Header: Depth=1
	global_load_ubyte v4, v[2:3], off
	s_add_i32 s7, s7, -1
	v_add_co_u32_e32 v2, vcc, 1, v2
	v_addc_co_u32_e32 v3, vcc, 0, v3, vcc
	s_cmp_eq_u32 s7, 0
	s_waitcnt vmcnt(0)
	v_mad_u32_u24 v4, v4, s4, v0
	ds_read_u8 v5, v4
	s_waitcnt lgkmcnt(0)
	v_add_u16_e32 v5, 1, v5
	ds_write_b8 v4, v5
	s_cbranch_scc0 .LBB0_2
.LBB0_3:
	s_cmpk_gt_u32 s4, 0x100
	s_waitcnt lgkmcnt(0)
	s_barrier
	s_cbranch_scc1 .LBB0_20
; %bb.4:
	v_cvt_f32_u32_e32 v0, s4
	s_mov_b32 s1, 0x43800000
	s_mov_b32 s0, 0
	v_rcp_iflag_f32_e32 v2, v0
	v_mul_f32_e32 v2, 0x43800000, v2
	v_trunc_f32_e32 v2, v2
	v_cvt_u32_f32_e32 v3, v2
	v_mad_f32 v2, -v2, v0, s1
	v_cmp_ge_f32_e64 s[8:9], |v2|, v0
	s_cmp_lg_u64 s[8:9], 0
	v_readfirstlane_b32 s5, v3
	s_addc_u32 s1, s5, 0
	s_and_b32 s7, s1, 0xffff
	s_lshl_b32 s1, s6, 8
	s_cmp_lg_u64 s[8:9], 0
	s_addc_u32 s5, s5, -1
	s_and_b32 s5, s5, 0xffff
	s_cmp_lt_u32 s5, 3
	s_mul_i32 s5, s4, s4
	s_cbranch_scc1 .LBB0_15
; %bb.5:
	v_add_u32_e32 v2, s4, v1
	v_mad_u64_u32 v[4:5], s[10:11], s4, 3, v[1:2]
	v_lshl_add_u32 v3, s4, 1, v1
	s_and_b32 s0, s7, 0x1fc
	s_mov_b32 s6, 0
	v_mad_u32_u24 v0, v1, s4, 0
	s_lshl_b32 s8, s5, 2
	v_mad_u32_u24 v2, v2, s4, 0
	v_mad_u32_u24 v3, v3, s4, 0
	;; [unrolled: 1-line block ×3, first 2 shown]
	v_mov_b32_e32 v5, s3
	s_add_i32 s9, s1, s4
.LBB0_6:                                ; =>This Loop Header: Depth=1
                                        ;     Child Loop BB0_7 Depth 2
                                        ;     Child Loop BB0_9 Depth 2
	;; [unrolled: 1-line block ×4, first 2 shown]
	v_mov_b32_e32 v6, 0
	v_mov_b32_e32 v7, v0
	s_mov_b32 s10, s4
.LBB0_7:                                ;   Parent Loop BB0_6 Depth=1
                                        ; =>  This Inner Loop Header: Depth=2
	ds_read_u8 v8, v7
	s_add_i32 s10, s10, -1
	v_add_u32_e32 v7, 1, v7
	s_cmp_eq_u32 s10, 0
	s_waitcnt lgkmcnt(0)
	v_add_u32_e32 v6, v6, v8
	s_cbranch_scc0 .LBB0_7
; %bb.8:                                ;   in Loop: Header=BB0_6 Depth=1
	s_mul_i32 s10, s6, s4
	v_add_u32_e32 v7, s10, v1
	v_add_u32_e32 v8, s1, v7
	v_ashrrev_i32_e32 v9, 31, v8
	v_lshlrev_b64 v[8:9], 2, v[8:9]
	s_mov_b32 s10, s4
	v_add_co_u32_e32 v8, vcc, s2, v8
	v_addc_co_u32_e32 v9, vcc, v5, v9, vcc
	global_store_dword v[8:9], v6, off
	v_mov_b32_e32 v8, 0
	v_mov_b32_e32 v6, v2
.LBB0_9:                                ;   Parent Loop BB0_6 Depth=1
                                        ; =>  This Inner Loop Header: Depth=2
	ds_read_u8 v9, v6
	s_add_i32 s10, s10, -1
	v_add_u32_e32 v6, 1, v6
	s_cmp_lg_u32 s10, 0
	s_waitcnt lgkmcnt(0)
	v_add_u32_e32 v8, v8, v9
	s_cbranch_scc1 .LBB0_9
; %bb.10:                               ;   in Loop: Header=BB0_6 Depth=1
	v_add_u32_e32 v6, s4, v7
	v_add_u32_e32 v9, s1, v6
	v_ashrrev_i32_e32 v10, 31, v9
	v_lshlrev_b64 v[9:10], 2, v[9:10]
	v_mov_b32_e32 v7, 0
	v_add_co_u32_e32 v9, vcc, s2, v9
	v_addc_co_u32_e32 v10, vcc, v5, v10, vcc
	global_store_dword v[9:10], v8, off
	v_mov_b32_e32 v8, v3
	s_mov_b32 s10, s4
.LBB0_11:                               ;   Parent Loop BB0_6 Depth=1
                                        ; =>  This Inner Loop Header: Depth=2
	ds_read_u8 v9, v8
	s_add_i32 s10, s10, -1
	v_add_u32_e32 v8, 1, v8
	s_cmp_lg_u32 s10, 0
	s_waitcnt lgkmcnt(0)
	v_add_u32_e32 v7, v7, v9
	s_cbranch_scc1 .LBB0_11
; %bb.12:                               ;   in Loop: Header=BB0_6 Depth=1
	v_add_u32_e32 v6, s4, v6
	v_add_u32_e32 v8, s1, v6
	v_ashrrev_i32_e32 v9, 31, v8
	v_lshlrev_b64 v[8:9], 2, v[8:9]
	v_mov_b32_e32 v10, s3
	v_add_co_u32_e32 v8, vcc, s2, v8
	v_addc_co_u32_e32 v9, vcc, v10, v9, vcc
	global_store_dword v[8:9], v7, off
	v_mov_b32_e32 v7, 0
	v_mov_b32_e32 v8, v4
	s_mov_b32 s10, s4
.LBB0_13:                               ;   Parent Loop BB0_6 Depth=1
                                        ; =>  This Inner Loop Header: Depth=2
	ds_read_u8 v9, v8
	s_add_i32 s10, s10, -1
	v_add_u32_e32 v8, 1, v8
	s_cmp_lg_u32 s10, 0
	s_waitcnt lgkmcnt(0)
	v_add_u32_e32 v7, v7, v9
	s_cbranch_scc1 .LBB0_13
; %bb.14:                               ;   in Loop: Header=BB0_6 Depth=1
	v_add_u32_e32 v8, s9, v6
	v_ashrrev_i32_e32 v9, 31, v8
	v_lshlrev_b64 v[8:9], 2, v[8:9]
	v_mov_b32_e32 v6, s3
	v_add_co_u32_e32 v8, vcc, s2, v8
	s_add_i32 s6, s6, 4
	v_addc_co_u32_e32 v9, vcc, v6, v9, vcc
	v_add_u32_e32 v0, s8, v0
	v_add_u32_e32 v2, s8, v2
	;; [unrolled: 1-line block ×3, first 2 shown]
	s_cmp_eq_u32 s6, s0
	v_add_u32_e32 v4, s8, v4
	global_store_dword v[8:9], v7, off
	s_cbranch_scc0 .LBB0_6
.LBB0_15:
	s_and_b32 s6, s7, 3
	s_cmp_eq_u32 s6, 0
	s_mov_b32 s7, 0
	s_cbranch_scc1 .LBB0_20
; %bb.16:
	s_mul_i32 s8, s0, s4
	v_add_u32_e32 v0, s8, v1
	v_mul_lo_u32 v0, v0, s4
	v_mov_b32_e32 v2, s3
	v_add_u32_e32 v0, 0, v0
.LBB0_17:                               ; =>This Loop Header: Depth=1
                                        ;     Child Loop BB0_18 Depth 2
	v_mov_b32_e32 v3, 0
	v_mov_b32_e32 v4, v0
	s_mov_b32 s3, s4
.LBB0_18:                               ;   Parent Loop BB0_17 Depth=1
                                        ; =>  This Inner Loop Header: Depth=2
	ds_read_u8 v5, v4
	s_add_i32 s3, s3, -1
	v_add_u32_e32 v4, 1, v4
	s_cmp_lg_u32 s3, 0
	s_waitcnt lgkmcnt(0)
	v_add_u32_e32 v3, v3, v5
	s_cbranch_scc1 .LBB0_18
; %bb.19:                               ;   in Loop: Header=BB0_17 Depth=1
	s_mul_i32 s3, s0, s4
	s_add_i32 s3, s1, s3
	v_add_u32_e32 v4, s3, v1
	v_ashrrev_i32_e32 v5, 31, v4
	v_lshlrev_b64 v[4:5], 2, v[4:5]
	s_add_i32 s0, s0, 1
	v_add_co_u32_e32 v4, vcc, s2, v4
	s_add_i32 s7, s7, 1
	v_addc_co_u32_e32 v5, vcc, v2, v5, vcc
	s_cmp_lg_u32 s7, s6
	v_add_u32_e32 v0, s5, v0
	global_store_dword v[4:5], v3, off
	s_cbranch_scc1 .LBB0_17
.LBB0_20:
	s_endpgm
	.section	.rodata,"a",@progbits
	.p2align	6, 0x0
	.amdhsa_kernel _Z18histogram256_blockPhPji
		.amdhsa_group_segment_fixed_size 0
		.amdhsa_private_segment_fixed_size 0
		.amdhsa_kernarg_size 280
		.amdhsa_user_sgpr_count 6
		.amdhsa_user_sgpr_private_segment_buffer 1
		.amdhsa_user_sgpr_dispatch_ptr 0
		.amdhsa_user_sgpr_queue_ptr 0
		.amdhsa_user_sgpr_kernarg_segment_ptr 1
		.amdhsa_user_sgpr_dispatch_id 0
		.amdhsa_user_sgpr_flat_scratch_init 0
		.amdhsa_user_sgpr_private_segment_size 0
		.amdhsa_uses_dynamic_stack 0
		.amdhsa_system_sgpr_private_segment_wavefront_offset 0
		.amdhsa_system_sgpr_workgroup_id_x 1
		.amdhsa_system_sgpr_workgroup_id_y 0
		.amdhsa_system_sgpr_workgroup_id_z 0
		.amdhsa_system_sgpr_workgroup_info 0
		.amdhsa_system_vgpr_workitem_id 0
		.amdhsa_next_free_vgpr 11
		.amdhsa_next_free_sgpr 12
		.amdhsa_reserve_vcc 1
		.amdhsa_reserve_flat_scratch 0
		.amdhsa_float_round_mode_32 0
		.amdhsa_float_round_mode_16_64 0
		.amdhsa_float_denorm_mode_32 3
		.amdhsa_float_denorm_mode_16_64 3
		.amdhsa_dx10_clamp 1
		.amdhsa_ieee_mode 1
		.amdhsa_fp16_overflow 0
		.amdhsa_exception_fp_ieee_invalid_op 0
		.amdhsa_exception_fp_denorm_src 0
		.amdhsa_exception_fp_ieee_div_zero 0
		.amdhsa_exception_fp_ieee_overflow 0
		.amdhsa_exception_fp_ieee_underflow 0
		.amdhsa_exception_fp_ieee_inexact 0
		.amdhsa_exception_int_div_zero 0
	.end_amdhsa_kernel
	.text
.Lfunc_end0:
	.size	_Z18histogram256_blockPhPji, .Lfunc_end0-_Z18histogram256_blockPhPji
                                        ; -- End function
	.set _Z18histogram256_blockPhPji.num_vgpr, 11
	.set _Z18histogram256_blockPhPji.num_agpr, 0
	.set _Z18histogram256_blockPhPji.numbered_sgpr, 12
	.set _Z18histogram256_blockPhPji.num_named_barrier, 0
	.set _Z18histogram256_blockPhPji.private_seg_size, 0
	.set _Z18histogram256_blockPhPji.uses_vcc, 1
	.set _Z18histogram256_blockPhPji.uses_flat_scratch, 0
	.set _Z18histogram256_blockPhPji.has_dyn_sized_stack, 0
	.set _Z18histogram256_blockPhPji.has_recursion, 0
	.set _Z18histogram256_blockPhPji.has_indirect_call, 0
	.section	.AMDGPU.csdata,"",@progbits
; Kernel info:
; codeLenInByte = 1056
; TotalNumSgprs: 16
; NumVgprs: 11
; ScratchSize: 0
; MemoryBound: 0
; FloatMode: 240
; IeeeMode: 1
; LDSByteSize: 0 bytes/workgroup (compile time only)
; SGPRBlocks: 1
; VGPRBlocks: 2
; NumSGPRsForWavesPerEU: 16
; NumVGPRsForWavesPerEU: 11
; Occupancy: 10
; WaveLimiterHint : 0
; COMPUTE_PGM_RSRC2:SCRATCH_EN: 0
; COMPUTE_PGM_RSRC2:USER_SGPR: 6
; COMPUTE_PGM_RSRC2:TRAP_HANDLER: 0
; COMPUTE_PGM_RSRC2:TGID_X_EN: 1
; COMPUTE_PGM_RSRC2:TGID_Y_EN: 0
; COMPUTE_PGM_RSRC2:TGID_Z_EN: 0
; COMPUTE_PGM_RSRC2:TIDIG_COMP_CNT: 0
	.section	.AMDGPU.gpr_maximums,"",@progbits
	.set amdgpu.max_num_vgpr, 0
	.set amdgpu.max_num_agpr, 0
	.set amdgpu.max_num_sgpr, 0
	.section	.AMDGPU.csdata,"",@progbits
	.type	__hip_cuid_925b38ae3bd998,@object ; @__hip_cuid_925b38ae3bd998
	.section	.bss,"aw",@nobits
	.globl	__hip_cuid_925b38ae3bd998
__hip_cuid_925b38ae3bd998:
	.byte	0                               ; 0x0
	.size	__hip_cuid_925b38ae3bd998, 1

	.ident	"AMD clang version 22.0.0git (https://github.com/RadeonOpenCompute/llvm-project roc-7.2.4 26084 f58b06dce1f9c15707c5f808fd002e18c2accf7e)"
	.section	".note.GNU-stack","",@progbits
	.addrsig
	.addrsig_sym __hip_cuid_925b38ae3bd998
	.amdgpu_metadata
---
amdhsa.kernels:
  - .args:
      - .address_space:  global
        .offset:         0
        .size:           8
        .value_kind:     global_buffer
      - .address_space:  global
        .offset:         8
        .size:           8
        .value_kind:     global_buffer
      - .offset:         16
        .size:           4
        .value_kind:     by_value
      - .offset:         24
        .size:           4
        .value_kind:     hidden_block_count_x
      - .offset:         28
        .size:           4
        .value_kind:     hidden_block_count_y
      - .offset:         32
        .size:           4
        .value_kind:     hidden_block_count_z
      - .offset:         36
        .size:           2
        .value_kind:     hidden_group_size_x
      - .offset:         38
        .size:           2
        .value_kind:     hidden_group_size_y
      - .offset:         40
        .size:           2
        .value_kind:     hidden_group_size_z
      - .offset:         42
        .size:           2
        .value_kind:     hidden_remainder_x
      - .offset:         44
        .size:           2
        .value_kind:     hidden_remainder_y
      - .offset:         46
        .size:           2
        .value_kind:     hidden_remainder_z
      - .offset:         64
        .size:           8
        .value_kind:     hidden_global_offset_x
      - .offset:         72
        .size:           8
        .value_kind:     hidden_global_offset_y
      - .offset:         80
        .size:           8
        .value_kind:     hidden_global_offset_z
      - .offset:         88
        .size:           2
        .value_kind:     hidden_grid_dims
      - .offset:         144
        .size:           4
        .value_kind:     hidden_dynamic_lds_size
    .group_segment_fixed_size: 0
    .kernarg_segment_align: 8
    .kernarg_segment_size: 280
    .language:       OpenCL C
    .language_version:
      - 2
      - 0
    .max_flat_workgroup_size: 1024
    .name:           _Z18histogram256_blockPhPji
    .private_segment_fixed_size: 0
    .sgpr_count:     16
    .sgpr_spill_count: 0
    .symbol:         _Z18histogram256_blockPhPji.kd
    .uniform_work_group_size: 1
    .uses_dynamic_stack: false
    .vgpr_count:     11
    .vgpr_spill_count: 0
    .wavefront_size: 64
amdhsa.target:   amdgcn-amd-amdhsa--gfx906
amdhsa.version:
  - 1
  - 2
...

	.end_amdgpu_metadata
